;; amdgpu-corpus repo=ROCm/rocFFT kind=compiled arch=gfx1030 opt=O3
	.text
	.amdgcn_target "amdgcn-amd-amdhsa--gfx1030"
	.amdhsa_code_object_version 6
	.protected	fft_rtc_fwd_len476_factors_17_2_7_2_wgs_102_tpt_34_halfLds_sp_ip_CI_unitstride_sbrr_R2C_dirReg ; -- Begin function fft_rtc_fwd_len476_factors_17_2_7_2_wgs_102_tpt_34_halfLds_sp_ip_CI_unitstride_sbrr_R2C_dirReg
	.globl	fft_rtc_fwd_len476_factors_17_2_7_2_wgs_102_tpt_34_halfLds_sp_ip_CI_unitstride_sbrr_R2C_dirReg
	.p2align	8
	.type	fft_rtc_fwd_len476_factors_17_2_7_2_wgs_102_tpt_34_halfLds_sp_ip_CI_unitstride_sbrr_R2C_dirReg,@function
fft_rtc_fwd_len476_factors_17_2_7_2_wgs_102_tpt_34_halfLds_sp_ip_CI_unitstride_sbrr_R2C_dirReg: ; @fft_rtc_fwd_len476_factors_17_2_7_2_wgs_102_tpt_34_halfLds_sp_ip_CI_unitstride_sbrr_R2C_dirReg
; %bb.0:
	s_load_dwordx4 s[8:11], s[4:5], 0x0
	v_mul_u32_u24_e32 v1, 0x788, v0
	s_clause 0x1
	s_load_dwordx2 s[2:3], s[4:5], 0x50
	s_load_dwordx2 s[12:13], s[4:5], 0x18
	v_mov_b32_e32 v5, 0
	v_mov_b32_e32 v3, 0
	;; [unrolled: 1-line block ×3, first 2 shown]
	v_lshrrev_b32_e32 v1, 16, v1
	v_mad_u64_u32 v[1:2], null, s6, 3, v[1:2]
	v_mov_b32_e32 v2, v5
	v_mov_b32_e32 v10, v2
	;; [unrolled: 1-line block ×3, first 2 shown]
	s_waitcnt lgkmcnt(0)
	v_cmp_lt_u64_e64 s0, s[10:11], 2
	s_and_b32 vcc_lo, exec_lo, s0
	s_cbranch_vccnz .LBB0_8
; %bb.1:
	s_load_dwordx2 s[0:1], s[4:5], 0x10
	v_mov_b32_e32 v3, 0
	v_mov_b32_e32 v8, v2
	s_add_u32 s6, s12, 8
	v_mov_b32_e32 v4, 0
	v_mov_b32_e32 v7, v1
	s_addc_u32 s7, s13, 0
	s_mov_b64 s[16:17], 1
	s_waitcnt lgkmcnt(0)
	s_add_u32 s14, s0, 8
	s_addc_u32 s15, s1, 0
.LBB0_2:                                ; =>This Inner Loop Header: Depth=1
	s_load_dwordx2 s[18:19], s[14:15], 0x0
                                        ; implicit-def: $vgpr9_vgpr10
	s_mov_b32 s0, exec_lo
	s_waitcnt lgkmcnt(0)
	v_or_b32_e32 v6, s19, v8
	v_cmpx_ne_u64_e32 0, v[5:6]
	s_xor_b32 s1, exec_lo, s0
	s_cbranch_execz .LBB0_4
; %bb.3:                                ;   in Loop: Header=BB0_2 Depth=1
	v_cvt_f32_u32_e32 v2, s18
	v_cvt_f32_u32_e32 v6, s19
	s_sub_u32 s0, 0, s18
	s_subb_u32 s20, 0, s19
	v_fmac_f32_e32 v2, 0x4f800000, v6
	v_rcp_f32_e32 v2, v2
	v_mul_f32_e32 v2, 0x5f7ffffc, v2
	v_mul_f32_e32 v6, 0x2f800000, v2
	v_trunc_f32_e32 v6, v6
	v_fmac_f32_e32 v2, 0xcf800000, v6
	v_cvt_u32_f32_e32 v6, v6
	v_cvt_u32_f32_e32 v2, v2
	v_mul_lo_u32 v9, s0, v6
	v_mul_hi_u32 v10, s0, v2
	v_mul_lo_u32 v11, s20, v2
	v_add_nc_u32_e32 v9, v10, v9
	v_mul_lo_u32 v10, s0, v2
	v_add_nc_u32_e32 v9, v9, v11
	v_mul_hi_u32 v11, v2, v10
	v_mul_lo_u32 v12, v2, v9
	v_mul_hi_u32 v13, v2, v9
	v_mul_hi_u32 v14, v6, v10
	v_mul_lo_u32 v10, v6, v10
	v_mul_hi_u32 v15, v6, v9
	v_mul_lo_u32 v9, v6, v9
	v_add_co_u32 v11, vcc_lo, v11, v12
	v_add_co_ci_u32_e32 v12, vcc_lo, 0, v13, vcc_lo
	v_add_co_u32 v10, vcc_lo, v11, v10
	v_add_co_ci_u32_e32 v10, vcc_lo, v12, v14, vcc_lo
	v_add_co_ci_u32_e32 v11, vcc_lo, 0, v15, vcc_lo
	v_add_co_u32 v9, vcc_lo, v10, v9
	v_add_co_ci_u32_e32 v10, vcc_lo, 0, v11, vcc_lo
	v_add_co_u32 v2, vcc_lo, v2, v9
	v_add_co_ci_u32_e32 v6, vcc_lo, v6, v10, vcc_lo
	v_mul_hi_u32 v9, s0, v2
	v_mul_lo_u32 v11, s20, v2
	v_mul_lo_u32 v10, s0, v6
	v_add_nc_u32_e32 v9, v9, v10
	v_mul_lo_u32 v10, s0, v2
	v_add_nc_u32_e32 v9, v9, v11
	v_mul_hi_u32 v11, v2, v10
	v_mul_lo_u32 v12, v2, v9
	v_mul_hi_u32 v13, v2, v9
	v_mul_hi_u32 v14, v6, v10
	v_mul_lo_u32 v10, v6, v10
	v_mul_hi_u32 v15, v6, v9
	v_mul_lo_u32 v9, v6, v9
	v_add_co_u32 v11, vcc_lo, v11, v12
	v_add_co_ci_u32_e32 v12, vcc_lo, 0, v13, vcc_lo
	v_add_co_u32 v10, vcc_lo, v11, v10
	v_add_co_ci_u32_e32 v10, vcc_lo, v12, v14, vcc_lo
	v_add_co_ci_u32_e32 v11, vcc_lo, 0, v15, vcc_lo
	v_add_co_u32 v9, vcc_lo, v10, v9
	v_add_co_ci_u32_e32 v10, vcc_lo, 0, v11, vcc_lo
	v_add_co_u32 v2, vcc_lo, v2, v9
	v_add_co_ci_u32_e32 v6, vcc_lo, v6, v10, vcc_lo
	v_mul_hi_u32 v15, v7, v2
	v_mad_u64_u32 v[11:12], null, v8, v2, 0
	v_mad_u64_u32 v[9:10], null, v7, v6, 0
	v_mad_u64_u32 v[13:14], null, v8, v6, 0
	v_add_co_u32 v2, vcc_lo, v15, v9
	v_add_co_ci_u32_e32 v6, vcc_lo, 0, v10, vcc_lo
	v_add_co_u32 v2, vcc_lo, v2, v11
	v_add_co_ci_u32_e32 v2, vcc_lo, v6, v12, vcc_lo
	v_add_co_ci_u32_e32 v6, vcc_lo, 0, v14, vcc_lo
	v_add_co_u32 v2, vcc_lo, v2, v13
	v_add_co_ci_u32_e32 v6, vcc_lo, 0, v6, vcc_lo
	v_mul_lo_u32 v11, s19, v2
	v_mad_u64_u32 v[9:10], null, s18, v2, 0
	v_mul_lo_u32 v12, s18, v6
	v_sub_co_u32 v9, vcc_lo, v7, v9
	v_add3_u32 v10, v10, v12, v11
	v_sub_nc_u32_e32 v11, v8, v10
	v_subrev_co_ci_u32_e64 v11, s0, s19, v11, vcc_lo
	v_add_co_u32 v12, s0, v2, 2
	v_add_co_ci_u32_e64 v13, s0, 0, v6, s0
	v_sub_co_u32 v14, s0, v9, s18
	v_sub_co_ci_u32_e32 v10, vcc_lo, v8, v10, vcc_lo
	v_subrev_co_ci_u32_e64 v11, s0, 0, v11, s0
	v_cmp_le_u32_e32 vcc_lo, s18, v14
	v_cmp_eq_u32_e64 s0, s19, v10
	v_cndmask_b32_e64 v14, 0, -1, vcc_lo
	v_cmp_le_u32_e32 vcc_lo, s19, v11
	v_cndmask_b32_e64 v15, 0, -1, vcc_lo
	v_cmp_le_u32_e32 vcc_lo, s18, v9
	;; [unrolled: 2-line block ×3, first 2 shown]
	v_cndmask_b32_e64 v16, 0, -1, vcc_lo
	v_cmp_eq_u32_e32 vcc_lo, s19, v11
	v_cndmask_b32_e64 v9, v16, v9, s0
	v_cndmask_b32_e32 v11, v15, v14, vcc_lo
	v_add_co_u32 v14, vcc_lo, v2, 1
	v_add_co_ci_u32_e32 v15, vcc_lo, 0, v6, vcc_lo
	v_cmp_ne_u32_e32 vcc_lo, 0, v11
	v_cndmask_b32_e32 v10, v15, v13, vcc_lo
	v_cndmask_b32_e32 v11, v14, v12, vcc_lo
	v_cmp_ne_u32_e32 vcc_lo, 0, v9
	v_cndmask_b32_e32 v10, v6, v10, vcc_lo
	v_cndmask_b32_e32 v9, v2, v11, vcc_lo
.LBB0_4:                                ;   in Loop: Header=BB0_2 Depth=1
	s_andn2_saveexec_b32 s0, s1
	s_cbranch_execz .LBB0_6
; %bb.5:                                ;   in Loop: Header=BB0_2 Depth=1
	v_cvt_f32_u32_e32 v2, s18
	s_sub_i32 s1, 0, s18
	v_rcp_iflag_f32_e32 v2, v2
	v_mul_f32_e32 v2, 0x4f7ffffe, v2
	v_cvt_u32_f32_e32 v2, v2
	v_mul_lo_u32 v6, s1, v2
	v_mul_hi_u32 v6, v2, v6
	v_add_nc_u32_e32 v2, v2, v6
	v_mul_hi_u32 v2, v7, v2
	v_mul_lo_u32 v6, v2, s18
	v_add_nc_u32_e32 v9, 1, v2
	v_sub_nc_u32_e32 v6, v7, v6
	v_subrev_nc_u32_e32 v10, s18, v6
	v_cmp_le_u32_e32 vcc_lo, s18, v6
	v_cndmask_b32_e32 v6, v6, v10, vcc_lo
	v_cndmask_b32_e32 v2, v2, v9, vcc_lo
	v_mov_b32_e32 v10, v5
	v_cmp_le_u32_e32 vcc_lo, s18, v6
	v_add_nc_u32_e32 v9, 1, v2
	v_cndmask_b32_e32 v9, v2, v9, vcc_lo
.LBB0_6:                                ;   in Loop: Header=BB0_2 Depth=1
	s_or_b32 exec_lo, exec_lo, s0
	s_load_dwordx2 s[0:1], s[6:7], 0x0
	v_mul_lo_u32 v2, v10, s18
	v_mul_lo_u32 v6, v9, s19
	v_mad_u64_u32 v[11:12], null, v9, s18, 0
	s_add_u32 s16, s16, 1
	s_addc_u32 s17, s17, 0
	s_add_u32 s6, s6, 8
	s_addc_u32 s7, s7, 0
	;; [unrolled: 2-line block ×3, first 2 shown]
	v_add3_u32 v2, v12, v6, v2
	v_sub_co_u32 v6, vcc_lo, v7, v11
	v_sub_co_ci_u32_e32 v2, vcc_lo, v8, v2, vcc_lo
	s_waitcnt lgkmcnt(0)
	v_mul_lo_u32 v7, s1, v6
	v_mul_lo_u32 v2, s0, v2
	v_mad_u64_u32 v[3:4], null, s0, v6, v[3:4]
	v_cmp_ge_u64_e64 s0, s[16:17], s[10:11]
	s_and_b32 vcc_lo, exec_lo, s0
	v_add3_u32 v4, v7, v4, v2
	s_cbranch_vccnz .LBB0_8
; %bb.7:                                ;   in Loop: Header=BB0_2 Depth=1
	v_mov_b32_e32 v7, v9
	v_mov_b32_e32 v8, v10
	s_branch .LBB0_2
.LBB0_8:
	s_lshl_b64 s[0:1], s[10:11], 3
	v_mul_hi_u32 v2, 0xaaaaaaab, v1
	s_add_u32 s0, s12, s0
	s_addc_u32 s1, s13, s1
	s_load_dwordx2 s[4:5], s[4:5], 0x20
	s_load_dwordx2 s[0:1], s[0:1], 0x0
	v_mul_hi_u32 v5, 0x7878788, v0
	v_lshrrev_b32_e32 v2, 1, v2
	v_lshl_add_u32 v6, v2, 1, v2
	v_sub_nc_u32_e32 v1, v1, v6
	s_waitcnt lgkmcnt(0)
	v_cmp_gt_u64_e32 vcc_lo, s[4:5], v[9:10]
	v_mul_lo_u32 v7, s0, v10
	v_mul_lo_u32 v8, s1, v9
	v_mad_u64_u32 v[2:3], null, s0, v9, v[3:4]
	v_mul_u32_u24_e32 v4, 34, v5
	v_mul_u32_u24_e32 v1, 0x1dd, v1
	v_sub_nc_u32_e32 v32, v0, v4
	v_add3_u32 v3, v8, v3, v7
	v_lshlrev_b32_e32 v44, 3, v1
	v_lshlrev_b32_e32 v39, 3, v32
	v_lshlrev_b64 v[34:35], 3, v[2:3]
	s_and_saveexec_b32 s1, vcc_lo
	s_cbranch_execz .LBB0_10
; %bb.9:
	v_mov_b32_e32 v33, 0
	v_add_co_u32 v2, s0, s2, v34
	v_add_co_ci_u32_e64 v3, s0, s3, v35, s0
	v_lshlrev_b64 v[0:1], 3, v[32:33]
	v_add3_u32 v28, 0, v44, v39
	v_add_nc_u32_e32 v29, 0x800, v28
	v_add_co_u32 v0, s0, v2, v0
	v_add_co_ci_u32_e64 v1, s0, v3, v1, s0
	s_clause 0x3
	global_load_dwordx2 v[2:3], v[0:1], off
	global_load_dwordx2 v[4:5], v[0:1], off offset:272
	global_load_dwordx2 v[6:7], v[0:1], off offset:544
	;; [unrolled: 1-line block ×3, first 2 shown]
	v_add_co_u32 v10, s0, 0x800, v0
	v_add_co_ci_u32_e64 v11, s0, 0, v1, s0
	s_clause 0x9
	global_load_dwordx2 v[12:13], v[0:1], off offset:1088
	global_load_dwordx2 v[14:15], v[0:1], off offset:1360
	global_load_dwordx2 v[16:17], v[0:1], off offset:1632
	global_load_dwordx2 v[0:1], v[0:1], off offset:1904
	global_load_dwordx2 v[18:19], v[10:11], off offset:128
	global_load_dwordx2 v[20:21], v[10:11], off offset:400
	global_load_dwordx2 v[22:23], v[10:11], off offset:672
	global_load_dwordx2 v[24:25], v[10:11], off offset:944
	global_load_dwordx2 v[26:27], v[10:11], off offset:1216
	global_load_dwordx2 v[10:11], v[10:11], off offset:1488
	s_waitcnt vmcnt(12)
	ds_write2_b64 v28, v[2:3], v[4:5] offset1:34
	s_waitcnt vmcnt(10)
	ds_write2_b64 v28, v[6:7], v[8:9] offset0:68 offset1:102
	s_waitcnt vmcnt(8)
	ds_write2_b64 v28, v[12:13], v[14:15] offset0:136 offset1:170
	;; [unrolled: 2-line block ×6, first 2 shown]
.LBB0_10:
	s_or_b32 exec_lo, exec_lo, s1
	v_add_nc_u32_e32 v0, 0, v39
	v_add_nc_u32_e32 v40, 0, v44
	s_waitcnt lgkmcnt(0)
	s_barrier
	buffer_gl0_inv
	v_add_nc_u32_e32 v41, v0, v44
	v_add_nc_u32_e32 v38, v40, v39
	s_mov_b32 s1, exec_lo
	ds_read_b64 v[36:37], v38
	ds_read2_b64 v[12:15], v41 offset0:28 offset1:56
	v_add_nc_u32_e32 v43, 0x400, v41
	v_add_nc_u32_e32 v42, 0x800, v41
	ds_read2_b64 v[8:11], v41 offset0:84 offset1:112
	ds_read2_b64 v[20:23], v41 offset0:140 offset1:168
	;; [unrolled: 1-line block ×7, first 2 shown]
	s_waitcnt lgkmcnt(0)
	s_barrier
	buffer_gl0_inv
	v_cmpx_gt_u32_e32 28, v32
	s_cbranch_execz .LBB0_12
; %bb.11:
	v_add_f32_e32 v45, v3, v13
	v_add_f32_e32 v47, v37, v13
	;; [unrolled: 1-line block ×3, first 2 shown]
	v_sub_f32_e32 v46, v12, v2
	v_add_f32_e32 v33, v1, v15
	v_mul_f32_e32 v75, 0xbf1a4643, v45
	v_add_f32_e32 v47, v47, v15
	v_add_f32_e32 v48, v48, v14
	v_sub_f32_e32 v56, v14, v0
	v_mul_f32_e32 v76, 0xbe8c1d8e, v33
	v_fmamk_f32 v49, v46, 0x3f4c4adb, v75
	v_add_f32_e32 v50, v7, v9
	v_add_f32_e32 v47, v47, v9
	;; [unrolled: 1-line block ×3, first 2 shown]
	v_fmamk_f32 v51, v56, 0xbf763a35, v76
	v_add_f32_e32 v49, v37, v49
	v_sub_f32_e32 v57, v8, v6
	v_mul_f32_e32 v77, 0x3f6eb680, v50
	v_add_f32_e32 v47, v47, v11
	v_add_f32_e32 v48, v48, v10
	;; [unrolled: 1-line block ×3, first 2 shown]
	v_sub_f32_e32 v54, v28, v26
	v_fmamk_f32 v52, v57, 0x3eb8f4ab, v77
	v_add_f32_e32 v47, v47, v21
	v_add_f32_e32 v48, v48, v20
	v_sub_f32_e32 v53, v30, v24
	v_sub_f32_e32 v61, v15, v1
	v_add_f32_e32 v62, v52, v49
	v_add_f32_e32 v47, v47, v23
	;; [unrolled: 1-line block ×13, first 2 shown]
	v_sub_f32_e32 v55, v29, v27
	v_sub_f32_e32 v29, v31, v25
	;; [unrolled: 1-line block ×3, first 2 shown]
	v_add_f32_e32 v25, v60, v25
	v_add_f32_e32 v30, v59, v24
	v_sub_f32_e32 v60, v13, v3
	v_add_f32_e32 v24, v17, v23
	v_sub_f32_e32 v59, v21, v19
	v_add_f32_e32 v13, v25, v27
	v_add_f32_e32 v63, v30, v26
	;; [unrolled: 1-line block ×3, first 2 shown]
	v_mul_f32_e32 v12, 0xbf4c4adb, v60
	v_sub_f32_e32 v30, v22, v16
	v_add_f32_e32 v26, v0, v14
	v_add_f32_e32 v25, v18, v20
	v_add_f32_e32 v20, v16, v22
	v_sub_f32_e32 v21, v23, v17
	v_add_f32_e32 v13, v13, v17
	v_add_f32_e32 v14, v63, v16
	v_fmamk_f32 v16, v27, 0xbf1a4643, v12
	v_mul_f32_e32 v17, 0x3f763a35, v61
	v_sub_f32_e32 v22, v9, v7
	v_mul_f32_e32 v78, 0xbf59a7d5, v51
	v_sub_f32_e32 v58, v10, v4
	v_add_f32_e32 v13, v13, v19
	v_add_f32_e32 v14, v14, v18
	;; [unrolled: 1-line block ×3, first 2 shown]
	v_fmamk_f32 v16, v26, 0xbe8c1d8e, v17
	v_add_f32_e32 v19, v6, v8
	v_mul_f32_e32 v8, 0xbeb8f4ab, v22
	v_sub_f32_e32 v23, v11, v5
	v_fmamk_f32 v15, v58, 0x3f06c442, v78
	v_mul_f32_e32 v80, 0x3dbcf732, v52
	v_add_f32_e32 v9, v16, v9
	v_add_f32_e32 v18, v4, v10
	v_fmamk_f32 v10, v19, 0x3f6eb680, v8
	v_add_f32_e32 v5, v13, v5
	v_mul_f32_e32 v13, 0xbf06c442, v23
	v_add_f32_e32 v4, v14, v4
	v_add_f32_e32 v15, v15, v62
	v_fmamk_f32 v11, v31, 0xbf7ee86f, v80
	v_add_f32_e32 v9, v10, v9
	v_add_f32_e32 v5, v5, v7
	v_fmamk_f32 v7, v18, 0xbf59a7d5, v13
	v_mul_f32_e32 v14, 0x3f7ee86f, v59
	v_add_f32_e32 v4, v4, v6
	v_mul_f32_e32 v10, 0x3f3d2fb0, v24
	v_add_f32_e32 v6, v11, v15
	v_add_f32_e32 v7, v7, v9
	v_fmamk_f32 v9, v25, 0x3dbcf732, v14
	v_add_f32_e32 v0, v4, v0
	v_mul_f32_e32 v15, 0xbf2c7751, v21
	v_fmamk_f32 v11, v30, 0x3f2c7751, v10
	v_add_f32_e32 v1, v5, v1
	v_mul_f32_e32 v16, 0xbf7ba420, v48
	v_add_f32_e32 v4, v9, v7
	v_add_f32_e32 v0, v0, v2
	v_fmamk_f32 v2, v20, 0x3f3d2fb0, v15
	v_mul_f32_e32 v81, 0xbe3c28d5, v55
	v_mul_f32_e32 v5, 0xbf7ba420, v45
	v_add_f32_e32 v1, v1, v3
	v_add_f32_e32 v3, v11, v6
	v_fmamk_f32 v6, v54, 0x3e3c28d5, v16
	v_add_f32_e32 v2, v2, v4
	v_fmamk_f32 v4, v46, 0x3e3c28d5, v5
	v_mul_f32_e32 v7, 0x3f6eb680, v33
	v_fmamk_f32 v9, v49, 0xbf7ba420, v81
	v_add_f32_e32 v3, v6, v3
	v_mul_f32_e32 v62, 0xbf59a7d5, v50
	v_add_f32_e32 v4, v37, v4
	v_fmamk_f32 v6, v56, 0xbeb8f4ab, v7
	v_add_f32_e32 v2, v9, v2
	v_mul_f32_e32 v9, 0xbe3c28d5, v60
	v_mul_f32_e32 v64, 0x3f3d2fb0, v51
	;; [unrolled: 1-line block ×3, first 2 shown]
	v_add_f32_e32 v4, v6, v4
	v_fmamk_f32 v6, v57, 0x3f06c442, v62
	v_fmamk_f32 v66, v27, 0xbf7ba420, v9
	v_mul_f32_e32 v68, 0xbf1a4643, v52
	v_fmamk_f32 v69, v26, 0x3f6eb680, v67
	v_mul_f32_e32 v70, 0xbf06c442, v22
	v_add_f32_e32 v4, v6, v4
	v_fmamk_f32 v6, v58, 0xbf2c7751, v64
	v_add_f32_e32 v66, v36, v66
	v_mul_f32_e32 v11, 0x3ee437d1, v47
	v_mul_f32_e32 v71, 0x3ee437d1, v24
	;; [unrolled: 1-line block ×3, first 2 shown]
	v_add_f32_e32 v4, v6, v4
	v_fmamk_f32 v6, v31, 0x3f4c4adb, v68
	v_add_f32_e32 v66, v69, v66
	v_fmamk_f32 v69, v19, 0xbf59a7d5, v70
	v_mul_f32_e32 v82, 0x3f65296c, v29
	v_fmamk_f32 v63, v53, 0xbf65296c, v11
	v_add_f32_e32 v4, v6, v4
	v_fmamk_f32 v6, v30, 0xbf65296c, v71
	v_mul_f32_e32 v73, 0xbe8c1d8e, v48
	v_add_f32_e32 v66, v69, v66
	v_fmamk_f32 v69, v18, 0x3f3d2fb0, v72
	v_mul_f32_e32 v74, 0xbf4c4adb, v59
	v_fmamk_f32 v65, v28, 0x3ee437d1, v82
	v_add_f32_e32 v3, v63, v3
	v_add_f32_e32 v4, v6, v4
	v_fmamk_f32 v6, v54, 0x3f763a35, v73
	v_add_f32_e32 v63, v69, v66
	v_fmamk_f32 v66, v25, 0xbf1a4643, v74
	v_mul_f32_e32 v69, 0x3f65296c, v21
	v_fmac_f32_e32 v5, 0xbe3c28d5, v46
	v_add_f32_e32 v2, v65, v2
	v_add_f32_e32 v4, v6, v4
	;; [unrolled: 1-line block ×3, first 2 shown]
	v_fmamk_f32 v63, v20, 0x3ee437d1, v69
	v_mul_f32_e32 v65, 0xbf763a35, v55
	v_fma_f32 v9, 0xbf7ba420, v27, -v9
	v_add_f32_e32 v5, v37, v5
	v_fmac_f32_e32 v7, 0x3eb8f4ab, v56
	v_add_f32_e32 v6, v63, v6
	v_fmamk_f32 v63, v49, 0xbe8c1d8e, v65
	v_add_f32_e32 v9, v36, v9
	v_fma_f32 v66, 0x3f6eb680, v26, -v67
	v_add_f32_e32 v5, v7, v5
	v_fmac_f32_e32 v62, 0xbf06c442, v57
	v_add_f32_e32 v6, v63, v6
	v_mul_f32_e32 v7, 0x3dbcf732, v47
	v_add_f32_e32 v9, v66, v9
	v_fma_f32 v63, 0xbf59a7d5, v19, -v70
	v_add_f32_e32 v5, v62, v5
	v_fmac_f32_e32 v64, 0x3f2c7751, v58
	v_fmamk_f32 v62, v53, 0xbf7ee86f, v7
	v_mul_f32_e32 v66, 0x3f7ee86f, v29
	v_add_f32_e32 v9, v63, v9
	v_fma_f32 v63, 0x3f3d2fb0, v18, -v72
	v_add_f32_e32 v64, v64, v5
	v_fmac_f32_e32 v68, 0xbf4c4adb, v31
	v_add_f32_e32 v5, v62, v4
	v_fmamk_f32 v4, v28, 0x3dbcf732, v66
	v_add_f32_e32 v9, v63, v9
	v_fma_f32 v62, 0xbf1a4643, v25, -v74
	v_add_f32_e32 v63, v68, v64
	v_fmac_f32_e32 v71, 0x3f65296c, v30
	v_mul_f32_e32 v70, 0xbf06c442, v46
	v_add_f32_e32 v4, v4, v6
	v_add_f32_e32 v6, v62, v9
	v_fma_f32 v9, 0x3ee437d1, v20, -v69
	v_add_f32_e32 v62, v71, v63
	v_fmac_f32_e32 v73, 0xbf763a35, v54
	v_fmamk_f32 v63, v45, 0xbf59a7d5, v70
	v_mul_f32_e32 v64, 0x3f65296c, v56
	v_add_f32_e32 v6, v9, v6
	v_fma_f32 v9, 0xbe8c1d8e, v49, -v65
	v_add_f32_e32 v68, v73, v62
	v_add_f32_e32 v62, v37, v63
	v_fmamk_f32 v63, v33, 0x3ee437d1, v64
	v_mul_f32_e32 v65, 0xbf7ee86f, v57
	v_mul_f32_e32 v71, 0xbf06c442, v60
	v_add_f32_e32 v6, v9, v6
	v_mul_f32_e32 v69, 0x3f4c4adb, v58
	v_add_f32_e32 v9, v63, v62
	v_fmamk_f32 v62, v50, 0x3dbcf732, v65
	v_fma_f32 v63, 0xbf59a7d5, v27, -v71
	v_mul_f32_e32 v72, 0x3f65296c, v61
	v_fmamk_f32 v67, v51, 0xbf1a4643, v69
	v_mul_f32_e32 v73, 0xbf7ee86f, v22
	v_add_f32_e32 v9, v62, v9
	v_mul_f32_e32 v62, 0xbeb8f4ab, v31
	v_add_f32_e32 v74, v36, v63
	v_fma_f32 v79, 0x3ee437d1, v26, -v72
	v_fmac_f32_e32 v7, 0x3f7ee86f, v53
	v_add_f32_e32 v9, v67, v9
	v_fmamk_f32 v83, v52, 0x3f6eb680, v62
	v_mul_f32_e32 v63, 0xbe3c28d5, v30
	v_add_f32_e32 v74, v79, v74
	v_fma_f32 v79, 0x3dbcf732, v19, -v73
	v_mul_f32_e32 v67, 0x3f4c4adb, v23
	v_add_f32_e32 v7, v7, v68
	v_add_f32_e32 v9, v83, v9
	v_fmamk_f32 v83, v24, 0xbf7ba420, v63
	v_add_f32_e32 v74, v79, v74
	v_fma_f32 v79, 0xbf1a4643, v18, -v67
	v_mul_f32_e32 v68, 0xbeb8f4ab, v59
	v_fmac_f32_e32 v75, 0xbf4c4adb, v46
	v_add_f32_e32 v9, v83, v9
	v_fma_f32 v12, 0xbf1a4643, v27, -v12
	v_add_f32_e32 v79, v79, v74
	v_fma_f32 v83, 0x3f6eb680, v25, -v68
	v_mul_f32_e32 v74, 0xbe3c28d5, v21
	v_fmac_f32_e32 v76, 0x3f763a35, v56
	v_add_f32_e32 v12, v36, v12
	v_fma_f32 v17, 0xbe8c1d8e, v26, -v17
	v_add_f32_e32 v79, v83, v79
	v_add_f32_e32 v83, v37, v75
	v_fma_f32 v85, 0xbf7ba420, v20, -v74
	v_mul_f32_e32 v75, 0x3f2c7751, v55
	v_fmac_f32_e32 v77, 0xbeb8f4ab, v57
	v_add_f32_e32 v12, v17, v12
	v_add_f32_e32 v76, v76, v83
	v_fma_f32 v8, 0x3f6eb680, v19, -v8
	v_add_f32_e32 v79, v85, v79
	v_fma_f32 v17, 0x3f3d2fb0, v49, -v75
	v_fmac_f32_e32 v78, 0xbf06c442, v58
	v_add_f32_e32 v76, v77, v76
	v_add_f32_e32 v8, v8, v12
	v_fma_f32 v12, 0xbf59a7d5, v18, -v13
	v_add_f32_e32 v13, v17, v79
	v_fmac_f32_e32 v80, 0x3f7ee86f, v31
	v_add_f32_e32 v17, v78, v76
	v_mul_f32_e32 v76, 0xbf763a35, v29
	v_add_f32_e32 v8, v12, v8
	v_fma_f32 v12, 0x3dbcf732, v25, -v14
	v_fmac_f32_e32 v10, 0xbf2c7751, v30
	v_add_f32_e32 v14, v80, v17
	v_fmac_f32_e32 v16, 0xbe3c28d5, v54
	v_fma_f32 v66, 0x3dbcf732, v28, -v66
	v_add_f32_e32 v8, v12, v8
	v_fma_f32 v12, 0x3f3d2fb0, v20, -v15
	v_fma_f32 v15, 0xbe8c1d8e, v28, -v76
	v_add_f32_e32 v10, v10, v14
	v_fma_f32 v14, 0xbf7ba420, v49, -v81
	v_fmac_f32_e32 v11, 0x3f65296c, v53
	v_add_f32_e32 v12, v12, v8
	v_add_f32_e32 v8, v15, v13
	;; [unrolled: 1-line block ×3, first 2 shown]
	v_fma_f32 v13, 0x3ee437d1, v28, -v82
	v_mul_f32_e32 v85, 0xbf763a35, v60
	v_add_f32_e32 v12, v14, v12
	v_add_f32_e32 v6, v66, v6
	v_mul_f32_e32 v66, 0x3f2c7751, v54
	v_add_f32_e32 v11, v11, v10
	v_mul_f32_e32 v87, 0x3f06c442, v61
	v_add_f32_e32 v10, v13, v12
	v_fma_f32 v12, 0xbe8c1d8e, v27, -v85
	v_fmamk_f32 v84, v48, 0x3f3d2fb0, v66
	v_mul_f32_e32 v89, 0x3f2c7751, v22
	v_fma_f32 v15, 0xbf59a7d5, v26, -v87
	v_mul_f32_e32 v80, 0xbf65296c, v23
	v_add_f32_e32 v12, v36, v12
	v_add_f32_e32 v9, v84, v9
	v_mul_f32_e32 v84, 0xbf763a35, v46
	v_mul_f32_e32 v86, 0x3f06c442, v56
	;; [unrolled: 1-line block ×3, first 2 shown]
	v_add_f32_e32 v12, v15, v12
	v_fma_f32 v15, 0x3f3d2fb0, v19, -v89
	v_fmamk_f32 v14, v45, 0xbe8c1d8e, v84
	v_mul_f32_e32 v88, 0x3f2c7751, v57
	v_mul_f32_e32 v82, 0x3f7ee86f, v21
	;; [unrolled: 1-line block ×3, first 2 shown]
	v_add_f32_e32 v12, v15, v12
	v_fma_f32 v15, 0x3ee437d1, v18, -v80
	v_add_f32_e32 v13, v37, v14
	v_fmamk_f32 v14, v33, 0xbf59a7d5, v86
	v_mul_f32_e32 v83, 0xbeb8f4ab, v55
	v_mul_f32_e32 v91, 0xbe3c28d5, v31
	v_add_f32_e32 v12, v15, v12
	v_fma_f32 v15, 0xbf7ba420, v25, -v81
	v_add_f32_e32 v13, v14, v13
	v_fmamk_f32 v14, v50, 0x3f3d2fb0, v88
	v_mul_f32_e32 v95, 0xbf7ee86f, v46
	v_mul_f32_e32 v92, 0x3f7ee86f, v30
	;; [unrolled: 6-line block ×3, first 2 shown]
	v_add_f32_e32 v12, v15, v12
	v_fma_f32 v15, 0x3f6eb680, v49, -v83
	v_add_f32_e32 v13, v14, v13
	v_fmamk_f32 v14, v52, 0xbf7ba420, v91
	v_fmamk_f32 v16, v33, 0xbf7ba420, v97
	v_mul_f32_e32 v99, 0x3f763a35, v57
	v_add_f32_e32 v12, v15, v12
	v_fmamk_f32 v15, v45, 0x3dbcf732, v95
	v_add_f32_e32 v13, v14, v13
	v_fmamk_f32 v14, v24, 0x3dbcf732, v92
	v_mul_f32_e32 v94, 0xbf4c4adb, v53
	v_mul_f32_e32 v101, 0x3eb8f4ab, v58
	v_add_f32_e32 v15, v37, v15
	v_mul_f32_e32 v96, 0xbf4c4adb, v29
	v_add_f32_e32 v13, v14, v13
	v_fmamk_f32 v14, v48, 0x3f6eb680, v93
	v_mul_f32_e32 v103, 0xbf65296c, v31
	v_add_f32_e32 v15, v16, v15
	v_fmamk_f32 v16, v50, 0xbe8c1d8e, v99
	;; [unrolled: 3-line block ×4, first 2 shown]
	v_mul_f32_e32 v105, 0xbf06c442, v30
	v_add_f32_e32 v13, v14, v13
	v_fma_f32 v14, 0xbf1a4643, v28, -v96
	v_fmamk_f32 v17, v47, 0xbe8c1d8e, v79
	v_add_f32_e32 v15, v16, v15
	v_fmamk_f32 v16, v52, 0x3ee437d1, v103
	v_mul_f32_e32 v100, 0xbe3c28d5, v61
	v_add_f32_e32 v12, v14, v12
	v_fma_f32 v14, 0x3dbcf732, v27, -v98
	v_mul_f32_e32 v107, 0x3f4c4adb, v54
	v_add_f32_e32 v15, v16, v15
	v_fmamk_f32 v16, v24, 0xbf59a7d5, v105
	v_add_f32_e32 v9, v17, v9
	v_add_f32_e32 v14, v36, v14
	v_fma_f32 v17, 0xbf7ba420, v26, -v100
	v_mul_f32_e32 v102, 0x3f763a35, v22
	v_add_f32_e32 v15, v16, v15
	v_fmamk_f32 v16, v48, 0xbf1a4643, v107
	v_mul_f32_e32 v109, 0xbf65296c, v46
	v_add_f32_e32 v14, v17, v14
	v_fma_f32 v17, 0xbe8c1d8e, v19, -v102
	v_mul_f32_e32 v104, 0x3eb8f4ab, v23
	v_add_f32_e32 v15, v16, v15
	v_fmamk_f32 v16, v45, 0x3ee437d1, v109
	v_mul_f32_e32 v111, 0xbf4c4adb, v56
	;; [unrolled: 6-line block ×6, first 2 shown]
	v_add_f32_e32 v14, v17, v14
	v_fmamk_f32 v17, v47, 0x3f3d2fb0, v112
	v_mul_f32_e32 v114, 0x3f2c7751, v29
	v_add_f32_e32 v16, v78, v16
	v_fmamk_f32 v121, v24, 0x3f6eb680, v77
	v_mul_f32_e32 v78, 0xbf7ee86f, v54
	v_add_f32_e32 v15, v17, v15
	v_fma_f32 v17, 0x3f3d2fb0, v28, -v114
	v_mul_f32_e32 v116, 0xbf65296c, v60
	v_add_f32_e32 v16, v121, v16
	v_fmamk_f32 v121, v48, 0x3dbcf732, v78
	v_mul_f32_e32 v123, 0xbf2c7751, v46
	v_add_f32_e32 v14, v17, v14
	v_fma_f32 v17, 0x3ee437d1, v27, -v116
	;; [unrolled: 6-line block ×4, first 2 shown]
	v_mul_f32_e32 v124, 0x3f2c7751, v59
	v_add_f32_e32 v121, v127, v121
	v_mul_f32_e32 v127, 0xbf2c7751, v60
	v_mul_f32_e32 v128, 0xbf4c4adb, v57
	v_add_f32_e32 v17, v119, v17
	v_fma_f32 v119, 0xbe8c1d8e, v18, -v122
	v_mul_f32_e32 v133, 0xbf7ee86f, v61
	v_fma_f32 v132, 0x3f3d2fb0, v27, -v127
	v_mul_f32_e32 v126, 0xbeb8f4ab, v21
	v_fmamk_f32 v130, v50, 0xbf1a4643, v128
	v_add_f32_e32 v17, v119, v17
	v_fma_f32 v119, 0x3f3d2fb0, v25, -v124
	v_mul_f32_e32 v131, 0xbe3c28d5, v58
	v_add_f32_e32 v132, v36, v132
	v_fma_f32 v135, 0x3dbcf732, v26, -v133
	v_mul_f32_e32 v136, 0xbf4c4adb, v22
	;; [unrolled: 3-line block ×3, first 2 shown]
	v_add_f32_e32 v121, v130, v121
	v_fmamk_f32 v130, v51, 0xbf7ba420, v131
	v_mul_f32_e32 v137, 0x3f06c442, v31
	v_add_f32_e32 v132, v135, v132
	v_fma_f32 v135, 0xbf1a4643, v19, -v136
	v_mul_f32_e32 v138, 0xbe3c28d5, v23
	v_add_f32_e32 v17, v119, v17
	v_fma_f32 v119, 0x3dbcf732, v49, -v129
	v_mul_f32_e32 v134, 0xbf06c442, v53
	v_add_f32_e32 v121, v130, v121
	v_fmamk_f32 v130, v52, 0xbf59a7d5, v137
	v_mul_f32_e32 v139, 0x3f763a35, v30
	v_add_f32_e32 v132, v135, v132
	v_fma_f32 v135, 0xbf7ba420, v18, -v138
	v_mul_f32_e32 v140, 0x3f06c442, v59
	v_add_f32_e32 v119, v119, v17
	v_fmamk_f32 v17, v47, 0xbf59a7d5, v134
	v_add_f32_e32 v121, v130, v121
	v_fmamk_f32 v130, v24, 0xbe8c1d8e, v139
	v_add_f32_e32 v132, v135, v132
	v_fma_f32 v135, 0xbf59a7d5, v25, -v140
	v_mul_f32_e32 v142, 0x3f763a35, v21
	v_mul_f32_e32 v141, 0xbf06c442, v29
	v_add_f32_e32 v17, v17, v16
	v_mul_f32_e32 v143, 0x3f65296c, v54
	v_add_f32_e32 v16, v130, v121
	v_add_f32_e32 v121, v135, v132
	v_fma_f32 v130, 0xbe8c1d8e, v20, -v142
	v_mul_f32_e32 v132, 0x3f65296c, v55
	v_fmamk_f32 v135, v48, 0x3ee437d1, v143
	v_mul_f32_e32 v144, 0x3eb8f4ab, v53
	v_fma_f32 v145, 0xbf59a7d5, v28, -v141
	v_add_f32_e32 v121, v130, v121
	v_fma_f32 v130, 0x3ee437d1, v49, -v132
	v_add_f32_e32 v135, v135, v16
	v_fmamk_f32 v146, v47, 0x3f6eb680, v144
	v_mul_f32_e32 v46, 0xbeb8f4ab, v46
	v_add_f32_e32 v16, v145, v119
	v_add_f32_e32 v119, v130, v121
	v_mul_f32_e32 v121, 0xbeb8f4ab, v60
	v_add_f32_e32 v60, v146, v135
	v_fmamk_f32 v130, v45, 0x3f6eb680, v46
	v_mul_f32_e32 v135, 0xbf2c7751, v56
	v_mul_f32_e32 v61, 0xbf2c7751, v61
	v_fma_f32 v56, 0x3f6eb680, v27, -v121
	v_mul_f32_e32 v147, 0xbf65296c, v57
	v_add_f32_e32 v130, v37, v130
	v_fmamk_f32 v146, v33, 0x3f3d2fb0, v135
	v_fma_f32 v57, 0x3f3d2fb0, v26, -v61
	v_add_f32_e32 v56, v36, v56
	v_mul_f32_e32 v148, 0xbf65296c, v22
	v_mul_f32_e32 v23, 0xbf7ee86f, v23
	v_add_f32_e32 v22, v146, v130
	v_fmamk_f32 v130, v50, 0x3ee437d1, v147
	v_mul_f32_e32 v146, 0xbf7ee86f, v58
	v_add_f32_e32 v56, v57, v56
	v_fma_f32 v57, 0x3ee437d1, v19, -v148
	v_mul_f32_e32 v31, 0xbf763a35, v31
	v_add_f32_e32 v22, v130, v22
	v_fmamk_f32 v58, v51, 0x3dbcf732, v146
	v_mul_f32_e32 v130, 0xbf763a35, v59
	v_add_f32_e32 v56, v57, v56
	v_fma_f32 v57, 0x3dbcf732, v18, -v23
	;; [unrolled: 6-line block ×4, first 2 shown]
	v_mul_f32_e32 v152, 0xbf06c442, v55
	v_fma_f32 v55, 0x3f6eb680, v28, -v145
	v_add_f32_e32 v21, v22, v21
	v_fmamk_f32 v22, v48, 0xbf59a7d5, v151
	v_add_f32_e32 v30, v54, v30
	v_fma_f32 v54, 0xbf59a7d5, v49, -v152
	v_add_f32_e32 v59, v55, v119
	v_fma_f32 v55, 0xbf59a7d5, v45, -v70
	v_fmac_f32_e32 v71, 0xbf59a7d5, v27
	v_mul_f32_e32 v70, 0xbe3c28d5, v53
	v_add_f32_e32 v21, v22, v21
	v_add_f32_e32 v30, v54, v30
	;; [unrolled: 1-line block ×3, first 2 shown]
	v_fma_f32 v53, 0x3ee437d1, v33, -v64
	v_add_f32_e32 v54, v36, v71
	v_fmac_f32_e32 v72, 0x3ee437d1, v26
	v_mul_f32_e32 v64, 0xbe3c28d5, v29
	v_fmamk_f32 v29, v47, 0xbf7ba420, v70
	v_add_f32_e32 v53, v53, v22
	v_fma_f32 v55, 0x3dbcf732, v50, -v65
	v_add_f32_e32 v54, v72, v54
	v_fmac_f32_e32 v73, 0x3dbcf732, v19
	v_add_f32_e32 v22, v29, v21
	v_fma_f32 v21, 0xbf7ba420, v28, -v64
	v_add_f32_e32 v29, v55, v53
	v_fma_f32 v53, 0xbf1a4643, v51, -v69
	v_add_f32_e32 v54, v73, v54
	v_fmac_f32_e32 v67, 0xbf1a4643, v18
	v_add_f32_e32 v21, v21, v30
	v_fma_f32 v30, 0xbe8c1d8e, v45, -v84
	;; [unrolled: 6-line block ×5, first 2 shown]
	v_fmac_f32_e32 v85, 0xbe8c1d8e, v27
	v_add_f32_e32 v29, v53, v29
	v_add_f32_e32 v53, v75, v54
	v_fma_f32 v54, 0xbe8c1d8e, v47, -v79
	v_add_f32_e32 v55, v55, v30
	v_fma_f32 v56, 0xbf7ba420, v52, -v91
	v_add_f32_e32 v57, v36, v85
	v_fmac_f32_e32 v87, 0xbf59a7d5, v26
	v_fmac_f32_e32 v76, 0xbe8c1d8e, v28
	v_add_f32_e32 v30, v54, v29
	v_add_f32_e32 v54, v56, v55
	v_fma_f32 v55, 0x3dbcf732, v24, -v92
	v_add_f32_e32 v56, v87, v57
	v_fmac_f32_e32 v89, 0x3f3d2fb0, v19
	v_add_f32_e32 v29, v76, v53
	v_fma_f32 v53, 0x3dbcf732, v45, -v95
	v_add_f32_e32 v54, v55, v54
	v_fma_f32 v55, 0x3f6eb680, v48, -v93
	v_add_f32_e32 v56, v89, v56
	v_fmac_f32_e32 v80, 0x3ee437d1, v18
	v_add_f32_e32 v53, v37, v53
	v_fma_f32 v57, 0xbf7ba420, v33, -v97
	v_fmac_f32_e32 v98, 0x3dbcf732, v27
	v_add_f32_e32 v54, v55, v54
	v_add_f32_e32 v55, v80, v56
	v_fmac_f32_e32 v81, 0xbf7ba420, v25
	v_add_f32_e32 v53, v57, v53
	v_fma_f32 v56, 0xbe8c1d8e, v50, -v99
	v_add_f32_e32 v57, v36, v98
	v_fmac_f32_e32 v100, 0xbf7ba420, v26
	v_add_f32_e32 v55, v81, v55
	v_fmac_f32_e32 v82, 0x3dbcf732, v20
	v_add_f32_e32 v53, v56, v53
	v_fma_f32 v56, 0x3f6eb680, v51, -v101
	v_add_f32_e32 v57, v100, v57
	v_fmac_f32_e32 v102, 0xbe8c1d8e, v19
	;; [unrolled: 6-line block ×3, first 2 shown]
	v_add_f32_e32 v55, v83, v55
	v_fma_f32 v58, 0xbf1a4643, v47, -v94
	v_add_f32_e32 v53, v56, v53
	v_fma_f32 v56, 0xbf59a7d5, v24, -v105
	v_add_f32_e32 v57, v104, v57
	v_fmac_f32_e32 v106, 0x3ee437d1, v25
	v_fmac_f32_e32 v96, 0xbf1a4643, v28
	v_add_f32_e32 v54, v58, v54
	v_add_f32_e32 v56, v56, v53
	v_fma_f32 v58, 0xbf1a4643, v48, -v107
	v_add_f32_e32 v57, v106, v57
	v_fmac_f32_e32 v108, 0xbf59a7d5, v20
	v_add_f32_e32 v53, v96, v55
	v_fma_f32 v55, 0x3ee437d1, v45, -v109
	v_fmac_f32_e32 v116, 0x3ee437d1, v27
	v_add_f32_e32 v56, v58, v56
	v_add_f32_e32 v57, v108, v57
	v_fmac_f32_e32 v110, 0xbf1a4643, v49
	v_add_f32_e32 v55, v37, v55
	v_fma_f32 v58, 0xbf1a4643, v33, -v111
	v_add_f32_e32 v62, v36, v116
	v_fmac_f32_e32 v118, 0xbf1a4643, v26
	v_add_f32_e32 v57, v110, v57
	v_fma_f32 v63, 0x3f3d2fb0, v47, -v112
	v_add_f32_e32 v55, v58, v55
	v_fma_f32 v58, 0xbf7ba420, v50, -v113
	v_add_f32_e32 v62, v118, v62
	v_fmac_f32_e32 v120, 0xbf7ba420, v19
	v_fmac_f32_e32 v114, 0x3f3d2fb0, v28
	v_add_f32_e32 v56, v63, v56
	v_add_f32_e32 v58, v58, v55
	v_fma_f32 v63, 0xbe8c1d8e, v51, -v115
	v_add_f32_e32 v62, v120, v62
	v_fmac_f32_e32 v122, 0xbe8c1d8e, v18
	v_add_f32_e32 v55, v114, v57
	v_fma_f32 v57, 0x3f3d2fb0, v45, -v123
	v_add_f32_e32 v58, v63, v58
	v_fma_f32 v63, 0x3f3d2fb0, v52, -v117
	v_add_f32_e32 v62, v122, v62
	v_fmac_f32_e32 v124, 0x3f3d2fb0, v25
	v_add_f32_e32 v57, v37, v57
	v_fma_f32 v65, 0x3dbcf732, v33, -v125
	;; [unrolled: 6-line block ×5, first 2 shown]
	v_fmac_f32_e32 v127, 0x3f3d2fb0, v27
	v_add_f32_e32 v58, v63, v58
	v_add_f32_e32 v57, v141, v62
	v_fma_f32 v45, 0x3f6eb680, v45, -v46
	v_add_f32_e32 v46, v66, v65
	v_fma_f32 v62, 0xbe8c1d8e, v24, -v139
	v_add_f32_e32 v63, v36, v127
	v_fmac_f32_e32 v133, 0x3dbcf732, v26
	v_fmac_f32_e32 v121, 0x3f6eb680, v27
	v_add_f32_e32 v27, v37, v45
	v_add_f32_e32 v37, v62, v46
	v_fmac_f32_e32 v136, 0xbf1a4643, v19
	v_add_f32_e32 v46, v133, v63
	v_add_f32_e32 v36, v36, v121
	v_fma_f32 v33, 0x3f3d2fb0, v33, -v135
	v_fmac_f32_e32 v61, 0x3f3d2fb0, v26
	v_fmac_f32_e32 v138, 0xbf7ba420, v18
	v_add_f32_e32 v26, v136, v46
	v_fmac_f32_e32 v148, 0x3ee437d1, v19
	v_add_f32_e32 v27, v33, v27
	v_fma_f32 v33, 0x3ee437d1, v50, -v147
	v_add_f32_e32 v36, v61, v36
	v_add_f32_e32 v19, v138, v26
	v_fmac_f32_e32 v140, 0xbf59a7d5, v25
	v_fmac_f32_e32 v23, 0x3dbcf732, v18
	v_add_f32_e32 v26, v33, v27
	v_fma_f32 v27, 0x3dbcf732, v51, -v146
	v_add_f32_e32 v33, v148, v36
	v_add_f32_e32 v18, v140, v19
	v_fmac_f32_e32 v130, 0xbe8c1d8e, v25
	v_fmac_f32_e32 v142, 0xbe8c1d8e, v20
	v_add_f32_e32 v19, v27, v26
	v_fma_f32 v26, 0xbe8c1d8e, v52, -v31
	v_add_f32_e32 v23, v23, v33
	v_fma_f32 v24, 0xbf1a4643, v24, -v149
	v_fmac_f32_e32 v150, 0xbf1a4643, v20
	v_fma_f32 v45, 0x3ee437d1, v48, -v143
	v_add_f32_e32 v19, v26, v19
	v_add_f32_e32 v23, v130, v23
	;; [unrolled: 1-line block ×3, first 2 shown]
	v_fmac_f32_e32 v132, 0x3ee437d1, v49
	v_fmac_f32_e32 v152, 0xbf59a7d5, v49
	v_add_f32_e32 v19, v24, v19
	v_fma_f32 v24, 0xbf59a7d5, v48, -v151
	v_add_f32_e32 v23, v150, v23
	v_mul_u32_u24_e32 v25, 0x88, v32
	v_add_f32_e32 v37, v45, v37
	v_fma_f32 v20, 0x3f6eb680, v47, -v144
	v_add_f32_e32 v18, v132, v18
	v_fmac_f32_e32 v145, 0x3f6eb680, v28
	v_add_f32_e32 v24, v24, v19
	v_fma_f32 v26, 0xbf7ba420, v47, -v70
	v_add_f32_e32 v23, v152, v23
	v_fmac_f32_e32 v64, 0xbf7ba420, v28
	v_add3_u32 v25, 0, v25, v44
	v_add_f32_e32 v19, v20, v37
	v_add_f32_e32 v18, v145, v18
	;; [unrolled: 1-line block ×4, first 2 shown]
	ds_write2_b64 v25, v[0:1], v[21:22] offset1:1
	ds_write2_b64 v25, v[59:60], v[16:17] offset0:2 offset1:3
	ds_write2_b64 v25, v[14:15], v[12:13] offset0:4 offset1:5
	ds_write2_b64 v25, v[10:11], v[8:9] offset0:6 offset1:7
	ds_write2_b64 v25, v[6:7], v[4:5] offset0:8 offset1:9
	ds_write2_b64 v25, v[29:30], v[2:3] offset0:10 offset1:11
	ds_write2_b64 v25, v[53:54], v[55:56] offset0:12 offset1:13
	ds_write2_b64 v25, v[57:58], v[18:19] offset0:14 offset1:15
	ds_write_b64 v25, v[23:24] offset:128
.LBB0_12:
	s_or_b32 exec_lo, exec_lo, s1
	v_add_nc_u16 v4, v32, 34
	v_add_nc_u16 v6, v32, 0x44
	;; [unrolled: 1-line block ×3, first 2 shown]
	v_subrev_nc_u32_e32 v2, 17, v32
	v_cmp_gt_u32_e64 s0, 17, v32
	v_and_b32_e32 v0, 0xff, v4
	v_add_nc_u16 v8, v32, 0x88
	v_and_b32_e32 v11, 0xff, v6
	v_add_nc_u16 v9, v32, 0xaa
	v_and_b32_e32 v12, 0xff, v7
	v_mul_lo_u16 v0, 0xf1, v0
	v_mov_b32_e32 v1, 0
	v_mov_b32_e32 v5, 3
	v_add_nc_u16 v10, v32, 0xcc
	v_and_b32_e32 v13, 0xff, v8
	v_lshrrev_b16 v33, 12, v0
	v_cndmask_b32_e64 v0, v2, v32, s0
	v_mul_lo_u16 v11, 0xf1, v11
	v_and_b32_e32 v15, 0xff, v9
	v_mul_lo_u16 v12, 0xf1, v12
	v_mul_lo_u16 v14, v33, 17
	v_lshlrev_b64 v[2:3], 3, v[0:1]
	v_lshrrev_b16 v56, 12, v11
	v_mul_lo_u16 v11, 0xf1, v13
	v_lshrrev_b16 v57, 12, v12
	v_sub_nc_u16 v4, v4, v14
	v_mul_lo_u16 v12, 0xf1, v15
	v_add_co_u32 v2, s0, s8, v2
	v_add_co_ci_u32_e64 v3, s0, s9, v3, s0
	v_lshlrev_b32_sdwa v55, v5, v4 dst_sel:DWORD dst_unused:UNUSED_PAD src0_sel:DWORD src1_sel:BYTE_0
	v_and_b32_e32 v4, 0xff, v10
	v_mul_lo_u16 v13, v56, 17
	v_lshrrev_b16 v58, 12, v11
	v_lshrrev_b16 v59, 12, v12
	v_mul_lo_u16 v14, v57, 17
	v_mul_lo_u16 v4, 0xf1, v4
	s_waitcnt lgkmcnt(0)
	s_barrier
	buffer_gl0_inv
	global_load_dwordx2 v[26:27], v[2:3], off
	v_lshrrev_b16 v60, 12, v4
	v_sub_nc_u16 v2, v6, v13
	v_mul_lo_u16 v3, v58, 17
	v_mul_lo_u16 v6, v59, 17
	v_sub_nc_u16 v4, v7, v14
	v_mul_lo_u16 v7, v60, 17
	v_lshlrev_b32_sdwa v61, v5, v2 dst_sel:DWORD dst_unused:UNUSED_PAD src0_sel:DWORD src1_sel:BYTE_0
	v_sub_nc_u16 v2, v8, v3
	v_sub_nc_u16 v3, v9, v6
	v_lshlrev_b32_sdwa v62, v5, v4 dst_sel:DWORD dst_unused:UNUSED_PAD src0_sel:DWORD src1_sel:BYTE_0
	v_sub_nc_u16 v4, v10, v7
	s_clause 0x1
	global_load_dwordx2 v[28:29], v55, s[8:9]
	global_load_dwordx2 v[30:31], v61, s[8:9]
	v_lshlrev_b32_sdwa v63, v5, v2 dst_sel:DWORD dst_unused:UNUSED_PAD src0_sel:DWORD src1_sel:BYTE_0
	global_load_dwordx2 v[36:37], v62, s[8:9]
	v_lshlrev_b32_sdwa v64, v5, v3 dst_sel:DWORD dst_unused:UNUSED_PAD src0_sel:DWORD src1_sel:BYTE_0
	v_lshlrev_b32_sdwa v65, v5, v4 dst_sel:DWORD dst_unused:UNUSED_PAD src0_sel:DWORD src1_sel:BYTE_0
	s_clause 0x2
	global_load_dwordx2 v[45:46], v63, s[8:9]
	global_load_dwordx2 v[47:48], v64, s[8:9]
	;; [unrolled: 1-line block ×3, first 2 shown]
	ds_read2_b64 v[2:5], v43 offset0:110 offset1:144
	ds_read2_b64 v[6:9], v41 offset0:34 offset1:68
	v_cmp_lt_u32_e64 s0, 16, v32
	ds_read2_b64 v[10:13], v42 offset0:50 offset1:84
	ds_read2_b64 v[14:17], v41 offset0:102 offset1:136
	;; [unrolled: 1-line block ×3, first 2 shown]
	v_lshlrev_b32_e32 v0, 3, v0
	v_and_b32_e32 v33, 0xffff, v33
	v_and_b32_e32 v56, 0xffff, v56
	v_cndmask_b32_e64 v22, 0, 0x110, s0
	v_and_b32_e32 v57, 0xffff, v57
	v_and_b32_e32 v58, 0xffff, v58
	;; [unrolled: 1-line block ×4, first 2 shown]
	v_add_nc_u32_e32 v67, 0, v22
	ds_read2_b64 v[22:25], v41 offset0:170 offset1:204
	ds_read_b64 v[51:52], v38
	ds_read_b64 v[53:54], v41 offset:3536
	v_mad_u32_u24 v33, 0x110, v33, 0
	v_mad_u32_u24 v56, 0x110, v56, 0
	;; [unrolled: 1-line block ×3, first 2 shown]
	v_add3_u32 v0, v67, v0, v44
	v_mad_u32_u24 v58, 0x110, v58, 0
	v_mad_u32_u24 v59, 0x110, v59, 0
	;; [unrolled: 1-line block ×3, first 2 shown]
	v_add3_u32 v33, v33, v55, v44
	v_add3_u32 v55, v56, v61, v44
	;; [unrolled: 1-line block ×6, first 2 shown]
	v_mul_u32_u24_e32 v66, 6, v32
	s_waitcnt vmcnt(0) lgkmcnt(0)
	s_barrier
	buffer_gl0_inv
	s_add_u32 s1, s8, 0xe58
	v_lshlrev_b32_e32 v66, 3, v66
	s_addc_u32 s4, s9, 0
	s_mov_b32 s5, exec_lo
	v_mul_f32_e32 v67, v27, v3
	v_mul_f32_e32 v27, v27, v2
	v_fma_f32 v2, v26, v2, -v67
	v_fmac_f32_e32 v27, v26, v3
	v_sub_f32_e32 v2, v51, v2
	v_sub_f32_e32 v3, v52, v27
	v_mul_f32_e32 v59, v29, v5
	v_mul_f32_e32 v29, v29, v4
	;; [unrolled: 1-line block ×12, first 2 shown]
	v_fma_f32 v26, v51, 2.0, -v2
	v_fma_f32 v27, v52, 2.0, -v3
	v_fma_f32 v4, v28, v4, -v59
	v_fmac_f32_e32 v29, v28, v5
	v_fma_f32 v5, v30, v10, -v60
	v_fmac_f32_e32 v31, v30, v11
	;; [unrolled: 2-line block ×6, first 2 shown]
	ds_write2_b64 v0, v[26:27], v[2:3] offset1:17
	v_sub_f32_e32 v2, v6, v4
	v_sub_f32_e32 v3, v7, v29
	;; [unrolled: 1-line block ×12, first 2 shown]
	v_fma_f32 v6, v6, 2.0, -v2
	v_fma_f32 v7, v7, 2.0, -v3
	;; [unrolled: 1-line block ×12, first 2 shown]
	ds_write2_b64 v33, v[6:7], v[2:3] offset1:17
	ds_write2_b64 v55, v[8:9], v[4:5] offset1:17
	;; [unrolled: 1-line block ×6, first 2 shown]
	s_waitcnt lgkmcnt(0)
	s_barrier
	buffer_gl0_inv
	s_clause 0x2
	global_load_dwordx4 v[2:5], v66, s[8:9] offset:136
	global_load_dwordx4 v[6:9], v66, s[8:9] offset:152
	;; [unrolled: 1-line block ×3, first 2 shown]
	ds_read2_b64 v[14:17], v41 offset0:34 offset1:68
	ds_read2_b64 v[18:21], v41 offset0:102 offset1:136
	;; [unrolled: 1-line block ×6, first 2 shown]
	ds_read_b64 v[52:53], v38
	ds_read_b64 v[54:55], v41 offset:3536
	v_mov_b32_e32 v33, v1
	s_waitcnt vmcnt(0) lgkmcnt(0)
	s_barrier
	buffer_gl0_inv
	v_lshlrev_b64 v[0:1], 3, v[32:33]
	v_add_co_u32 v30, s0, s8, v0
	v_add_co_ci_u32_e64 v31, s0, s9, v1, s0
	v_add_co_u32 v36, s0, 0x800, v30
	v_add_co_ci_u32_e64 v37, s0, 0, v31, s0
	v_mul_f32_e32 v33, v3, v17
	v_mul_f32_e32 v56, v3, v16
	;; [unrolled: 1-line block ×24, first 2 shown]
	v_fma_f32 v16, v2, v16, -v33
	v_fmac_f32_e32 v56, v2, v17
	v_fma_f32 v17, v4, v20, -v57
	v_fmac_f32_e32 v58, v4, v21
	;; [unrolled: 2-line block ×12, first 2 shown]
	v_add_f32_e32 v12, v16, v25
	v_add_f32_e32 v19, v56, v66
	v_sub_f32_e32 v16, v16, v25
	v_add_f32_e32 v23, v17, v24
	v_add_f32_e32 v25, v58, v64
	;; [unrolled: 1-line block ×6, first 2 shown]
	v_sub_f32_e32 v10, v18, v10
	v_sub_f32_e32 v3, v3, v13
	v_add_f32_e32 v13, v2, v8
	v_add_f32_e32 v18, v5, v11
	v_sub_f32_e32 v22, v56, v66
	v_sub_f32_e32 v17, v17, v24
	;; [unrolled: 1-line block ×7, first 2 shown]
	v_add_f32_e32 v8, v4, v6
	v_add_f32_e32 v11, v7, v9
	v_sub_f32_e32 v4, v6, v4
	v_sub_f32_e32 v6, v9, v7
	v_add_f32_e32 v7, v23, v12
	v_add_f32_e32 v9, v25, v19
	v_sub_f32_e32 v33, v23, v12
	v_sub_f32_e32 v44, v25, v19
	v_sub_f32_e32 v12, v12, v26
	v_sub_f32_e32 v19, v19, v27
	v_sub_f32_e32 v23, v26, v23
	v_sub_f32_e32 v25, v27, v25
	v_add_f32_e32 v49, v13, v28
	v_add_f32_e32 v50, v18, v29
	;; [unrolled: 1-line block ×4, first 2 shown]
	v_sub_f32_e32 v47, v20, v17
	v_sub_f32_e32 v48, v21, v24
	v_sub_f32_e32 v17, v17, v16
	v_sub_f32_e32 v24, v24, v22
	v_sub_f32_e32 v51, v13, v28
	v_sub_f32_e32 v54, v18, v29
	v_sub_f32_e32 v28, v28, v8
	v_sub_f32_e32 v29, v29, v11
	v_sub_f32_e32 v18, v11, v18
	v_add_f32_e32 v55, v4, v2
	v_add_f32_e32 v56, v6, v5
	v_sub_f32_e32 v57, v4, v2
	v_sub_f32_e32 v58, v6, v5
	;; [unrolled: 1-line block ×3, first 2 shown]
	v_add_f32_e32 v7, v26, v7
	v_add_f32_e32 v9, v27, v9
	v_sub_f32_e32 v13, v8, v13
	v_sub_f32_e32 v59, v10, v4
	;; [unrolled: 1-line block ×3, first 2 shown]
	v_mul_f32_e32 v4, 0x3f4a47b2, v12
	v_mul_f32_e32 v5, 0x3f4a47b2, v19
	;; [unrolled: 1-line block ×4, first 2 shown]
	v_add_f32_e32 v8, v8, v49
	v_add_f32_e32 v11, v11, v50
	v_sub_f32_e32 v20, v16, v20
	v_sub_f32_e32 v21, v22, v21
	;; [unrolled: 1-line block ×3, first 2 shown]
	v_add_f32_e32 v16, v45, v16
	v_add_f32_e32 v22, v46, v22
	v_mul_f32_e32 v26, 0xbf08b237, v47
	v_mul_f32_e32 v27, 0xbf08b237, v48
	;; [unrolled: 1-line block ×4, first 2 shown]
	v_add_f32_e32 v10, v55, v10
	v_add_f32_e32 v47, v56, v3
	v_mul_f32_e32 v28, 0x3f4a47b2, v28
	v_mul_f32_e32 v29, 0x3f4a47b2, v29
	;; [unrolled: 1-line block ×6, first 2 shown]
	v_add_f32_e32 v2, v7, v52
	v_add_f32_e32 v3, v9, v53
	v_mul_f32_e32 v48, 0x3d64c772, v13
	v_mul_f32_e32 v56, 0x3f5ff5aa, v60
	v_fmamk_f32 v23, v23, 0x3d64c772, v4
	v_fmamk_f32 v25, v25, 0x3d64c772, v5
	v_fma_f32 v12, 0x3f3bfb3b, v33, -v12
	v_fma_f32 v19, 0x3f3bfb3b, v44, -v19
	;; [unrolled: 1-line block ×4, first 2 shown]
	v_add_f32_e32 v4, v8, v14
	v_add_f32_e32 v5, v11, v15
	v_fmamk_f32 v52, v20, 0x3eae86e6, v26
	v_fmamk_f32 v53, v21, 0x3eae86e6, v27
	v_fma_f32 v17, 0x3f5ff5aa, v17, -v26
	v_fma_f32 v24, 0x3f5ff5aa, v24, -v27
	;; [unrolled: 1-line block ×4, first 2 shown]
	v_fmamk_f32 v13, v13, 0x3d64c772, v28
	v_fmamk_f32 v14, v18, 0x3d64c772, v29
	v_fma_f32 v18, 0x3f3bfb3b, v54, -v49
	v_fma_f32 v26, 0xbf3bfb3b, v51, -v28
	v_fmamk_f32 v28, v6, 0x3eae86e6, v55
	v_fma_f32 v49, 0xbeae86e6, v6, -v57
	v_fmamk_f32 v6, v7, 0xbf955555, v2
	v_fmamk_f32 v7, v9, 0xbf955555, v3
	v_fma_f32 v15, 0x3f3bfb3b, v51, -v48
	v_fma_f32 v27, 0xbf3bfb3b, v54, -v29
	v_fmamk_f32 v29, v59, 0x3eae86e6, v50
	v_fma_f32 v48, 0xbeae86e6, v59, -v56
	v_fmamk_f32 v8, v8, 0xbf955555, v4
	v_fmamk_f32 v9, v11, 0xbf955555, v5
	v_fma_f32 v45, 0x3f5ff5aa, v60, -v50
	v_fma_f32 v46, 0x3f5ff5aa, v61, -v55
	v_fmac_f32_e32 v52, 0x3ee1c552, v16
	v_fmac_f32_e32 v53, 0x3ee1c552, v22
	v_fmac_f32_e32 v17, 0x3ee1c552, v16
	v_fmac_f32_e32 v24, 0x3ee1c552, v22
	v_fmac_f32_e32 v20, 0x3ee1c552, v16
	v_fmac_f32_e32 v21, 0x3ee1c552, v22
	v_add_f32_e32 v16, v23, v6
	v_add_f32_e32 v22, v25, v7
	;; [unrolled: 1-line block ×6, first 2 shown]
	v_fmac_f32_e32 v29, 0x3ee1c552, v10
	v_fmac_f32_e32 v28, 0x3ee1c552, v47
	;; [unrolled: 1-line block ×4, first 2 shown]
	v_add_f32_e32 v33, v13, v8
	v_add_f32_e32 v44, v14, v9
	;; [unrolled: 1-line block ×4, first 2 shown]
	v_fmac_f32_e32 v45, 0x3ee1c552, v10
	v_fmac_f32_e32 v46, 0x3ee1c552, v47
	v_add_f32_e32 v47, v15, v8
	v_add_f32_e32 v50, v18, v9
	;; [unrolled: 1-line block ×3, first 2 shown]
	v_sub_f32_e32 v7, v22, v52
	v_add_f32_e32 v8, v21, v23
	v_sub_f32_e32 v9, v25, v20
	v_sub_f32_e32 v10, v12, v24
	v_add_f32_e32 v11, v17, v19
	v_add_f32_e32 v12, v24, v12
	v_sub_f32_e32 v13, v19, v17
	v_sub_f32_e32 v14, v23, v21
	v_add_f32_e32 v15, v20, v25
	v_sub_f32_e32 v16, v16, v53
	v_add_f32_e32 v17, v52, v22
	v_add_f32_e32 v18, v28, v33
	v_sub_f32_e32 v19, v44, v29
	v_add_f32_e32 v20, v49, v26
	v_sub_f32_e32 v21, v27, v48
	v_sub_f32_e32 v26, v26, v49
	v_add_f32_e32 v27, v48, v27
	v_sub_f32_e32 v28, v33, v28
	v_add_f32_e32 v29, v29, v44
	;; [unrolled: 2-line block ×3, first 2 shown]
	v_add_f32_e32 v24, v46, v47
	v_sub_f32_e32 v25, v50, v45
	ds_write2_b64 v41, v[2:3], v[6:7] offset1:34
	ds_write2_b64 v41, v[8:9], v[10:11] offset0:68 offset1:102
	ds_write2_b64 v41, v[12:13], v[14:15] offset0:136 offset1:170
	;; [unrolled: 1-line block ×6, first 2 shown]
	s_waitcnt lgkmcnt(0)
	s_barrier
	buffer_gl0_inv
	s_clause 0x6
	global_load_dwordx2 v[26:27], v[30:31], off offset:1768
	global_load_dwordx2 v[28:29], v[30:31], off offset:2040
	;; [unrolled: 1-line block ×7, first 2 shown]
	ds_read2_b64 v[2:5], v43 offset0:110 offset1:144
	ds_read2_b64 v[6:9], v42 offset0:50 offset1:84
	;; [unrolled: 1-line block ×3, first 2 shown]
	ds_read_b64 v[50:51], v41 offset:3536
	ds_read_b64 v[52:53], v38
	ds_read2_b64 v[14:17], v41 offset0:34 offset1:68
	ds_read2_b64 v[18:21], v41 offset0:102 offset1:136
	;; [unrolled: 1-line block ×3, first 2 shown]
	s_waitcnt vmcnt(0) lgkmcnt(0)
	s_barrier
	buffer_gl0_inv
	v_mul_f32_e32 v33, v27, v3
	v_mul_f32_e32 v27, v27, v2
	;; [unrolled: 1-line block ×14, first 2 shown]
	v_fma_f32 v2, v26, v2, -v33
	v_fmac_f32_e32 v27, v26, v3
	v_fma_f32 v4, v28, v4, -v43
	v_fmac_f32_e32 v29, v28, v5
	v_fma_f32 v6, v30, v6, -v54
	v_fmac_f32_e32 v31, v30, v7
	v_fma_f32 v8, v44, v8, -v55
	v_fmac_f32_e32 v45, v44, v9
	v_fma_f32 v10, v46, v10, -v56
	v_fmac_f32_e32 v47, v46, v11
	v_fma_f32 v12, v12, v48, -v57
	v_fmac_f32_e32 v49, v13, v48
	v_fma_f32 v26, v50, v36, -v58
	v_fmac_f32_e32 v37, v51, v36
	v_sub_f32_e32 v2, v52, v2
	v_sub_f32_e32 v3, v53, v27
	;; [unrolled: 1-line block ×14, first 2 shown]
	v_fma_f32 v28, v52, 2.0, -v2
	v_fma_f32 v29, v53, 2.0, -v3
	;; [unrolled: 1-line block ×14, first 2 shown]
	ds_write2_b64 v42, v[4:5], v[6:7] offset0:16 offset1:50
	ds_write2_b64 v42, v[8:9], v[10:11] offset0:84 offset1:118
	;; [unrolled: 1-line block ×3, first 2 shown]
	ds_write2_b64 v41, v[28:29], v[14:15] offset1:34
	ds_write2_b64 v41, v[16:17], v[18:19] offset0:68 offset1:102
	ds_write2_b64 v41, v[20:21], v[22:23] offset0:136 offset1:170
	;; [unrolled: 1-line block ×3, first 2 shown]
	s_waitcnt lgkmcnt(0)
	s_barrier
	buffer_gl0_inv
	ds_read_b64 v[4:5], v38
	v_sub_nc_u32_e32 v6, v40, v39
                                        ; implicit-def: $vgpr2
                                        ; implicit-def: $vgpr7
                                        ; implicit-def: $vgpr8
	v_cmpx_ne_u32_e32 0, v32
	s_xor_b32 s5, exec_lo, s5
	s_cbranch_execz .LBB0_14
; %bb.13:
	v_add_co_u32 v2, s0, s1, v0
	v_add_co_ci_u32_e64 v3, s0, s4, v1, s0
                                        ; implicit-def: $vgpr40
	global_load_dwordx2 v[9:10], v[2:3], off
	ds_read_b64 v[2:3], v6 offset:3808
	s_waitcnt lgkmcnt(0)
	v_sub_f32_e32 v7, v4, v2
	v_add_f32_e32 v8, v3, v5
	v_sub_f32_e32 v3, v5, v3
	v_add_f32_e32 v2, v2, v4
	v_mul_f32_e32 v5, 0.5, v7
	v_mul_f32_e32 v4, 0.5, v8
	;; [unrolled: 1-line block ×3, first 2 shown]
	s_waitcnt vmcnt(0)
	v_mul_f32_e32 v8, v10, v5
	v_fma_f32 v11, v4, v10, v3
	v_fma_f32 v3, v4, v10, -v3
	v_fma_f32 v7, 0.5, v2, v8
	v_fma_f32 v2, v2, 0.5, -v8
	v_fma_f32 v8, -v9, v5, v11
	v_fma_f32 v3, -v9, v5, v3
	v_fmac_f32_e32 v7, v9, v4
	v_fma_f32 v2, -v9, v4, v2
                                        ; implicit-def: $vgpr4_vgpr5
.LBB0_14:
	s_andn2_saveexec_b32 s0, s5
	s_cbranch_execz .LBB0_16
; %bb.15:
	ds_read_b32 v3, v40 offset:1908
	s_waitcnt lgkmcnt(1)
	v_add_f32_e32 v7, v4, v5
	v_sub_f32_e32 v2, v4, v5
	v_mov_b32_e32 v8, 0
	s_waitcnt lgkmcnt(0)
	v_xor_b32_e32 v4, 0x80000000, v3
	v_mov_b32_e32 v3, 0
	ds_write_b32 v40, v4 offset:1908
.LBB0_16:
	s_or_b32 exec_lo, exec_lo, s0
	s_waitcnt lgkmcnt(0)
	v_add_co_u32 v4, s0, s1, v0
	v_add_co_ci_u32_e64 v5, s0, s4, v1, s0
	s_clause 0x5
	global_load_dwordx2 v[9:10], v[4:5], off offset:272
	global_load_dwordx2 v[11:12], v[4:5], off offset:544
	;; [unrolled: 1-line block ×6, first 2 shown]
	ds_write2_b32 v38, v7, v8 offset1:1
	ds_write_b64 v6, v[2:3] offset:3808
	ds_read_b64 v[2:3], v38 offset:272
	ds_read_b64 v[7:8], v6 offset:3536
	s_waitcnt lgkmcnt(0)
	v_sub_f32_e32 v19, v2, v7
	v_add_f32_e32 v20, v3, v8
	v_sub_f32_e32 v3, v3, v8
	v_add_f32_e32 v2, v2, v7
	v_mul_f32_e32 v8, 0.5, v19
	v_mul_f32_e32 v19, 0.5, v20
	;; [unrolled: 1-line block ×3, first 2 shown]
	s_waitcnt vmcnt(5)
	v_mul_f32_e32 v7, v10, v8
	v_fma_f32 v20, v19, v10, v3
	v_fma_f32 v3, v19, v10, -v3
	v_fma_f32 v10, 0.5, v2, v7
	v_fma_f32 v2, v2, 0.5, -v7
	v_fma_f32 v7, -v9, v8, v20
	v_fma_f32 v3, -v9, v8, v3
	v_fmac_f32_e32 v10, v9, v19
	v_fma_f32 v2, -v9, v19, v2
	ds_write2_b32 v38, v10, v7 offset0:68 offset1:69
	ds_write_b64 v6, v[2:3] offset:3536
	ds_read_b64 v[2:3], v38 offset:544
	ds_read_b64 v[7:8], v6 offset:3264
	s_waitcnt lgkmcnt(0)
	v_sub_f32_e32 v9, v2, v7
	v_add_f32_e32 v10, v3, v8
	v_sub_f32_e32 v3, v3, v8
	v_add_f32_e32 v2, v2, v7
	v_mul_f32_e32 v8, 0.5, v9
	v_mul_f32_e32 v9, 0.5, v10
	;; [unrolled: 1-line block ×3, first 2 shown]
	s_waitcnt vmcnt(4)
	v_mul_f32_e32 v7, v12, v8
	v_fma_f32 v10, v9, v12, v3
	v_fma_f32 v3, v9, v12, -v3
	v_fma_f32 v12, 0.5, v2, v7
	v_fma_f32 v2, v2, 0.5, -v7
	v_fma_f32 v7, -v11, v8, v10
	v_fma_f32 v3, -v11, v8, v3
	v_fmac_f32_e32 v12, v11, v9
	v_fma_f32 v2, -v11, v9, v2
	ds_write2_b32 v38, v12, v7 offset0:136 offset1:137
	ds_write_b64 v6, v[2:3] offset:3264
	ds_read_b64 v[2:3], v38 offset:816
	ds_read_b64 v[7:8], v6 offset:2992
	v_add_nc_u32_e32 v12, 0x400, v38
	s_waitcnt lgkmcnt(0)
	v_sub_f32_e32 v9, v2, v7
	v_add_f32_e32 v10, v3, v8
	v_sub_f32_e32 v3, v3, v8
	v_add_f32_e32 v2, v2, v7
	v_mul_f32_e32 v8, 0.5, v9
	v_mul_f32_e32 v9, 0.5, v10
	v_mul_f32_e32 v3, 0.5, v3
	s_waitcnt vmcnt(3)
	v_mul_f32_e32 v7, v14, v8
	v_fma_f32 v10, v9, v14, v3
	v_fma_f32 v3, v9, v14, -v3
	v_fma_f32 v11, 0.5, v2, v7
	v_fma_f32 v2, v2, 0.5, -v7
	v_fma_f32 v7, -v13, v8, v10
	v_fma_f32 v3, -v13, v8, v3
	v_fmac_f32_e32 v11, v13, v9
	v_fma_f32 v2, -v13, v9, v2
	ds_write2_b32 v38, v11, v7 offset0:204 offset1:205
	ds_write_b64 v6, v[2:3] offset:2992
	ds_read_b64 v[2:3], v38 offset:1088
	ds_read_b64 v[7:8], v6 offset:2720
	s_waitcnt lgkmcnt(0)
	v_sub_f32_e32 v9, v2, v7
	v_add_f32_e32 v10, v3, v8
	v_sub_f32_e32 v3, v3, v8
	v_add_f32_e32 v2, v2, v7
	v_mul_f32_e32 v8, 0.5, v9
	v_mul_f32_e32 v9, 0.5, v10
	v_mul_f32_e32 v3, 0.5, v3
	s_waitcnt vmcnt(2)
	v_mul_f32_e32 v7, v16, v8
	v_fma_f32 v10, v9, v16, v3
	v_fma_f32 v3, v9, v16, -v3
	v_fma_f32 v11, 0.5, v2, v7
	v_fma_f32 v2, v2, 0.5, -v7
	v_fma_f32 v7, -v15, v8, v10
	v_fma_f32 v3, -v15, v8, v3
	v_fmac_f32_e32 v11, v15, v9
	v_fma_f32 v2, -v15, v9, v2
	ds_write2_b32 v12, v11, v7 offset0:16 offset1:17
	ds_write_b64 v6, v[2:3] offset:2720
	ds_read_b64 v[2:3], v38 offset:1360
	ds_read_b64 v[7:8], v6 offset:2448
	;; [unrolled: 22-line block ×3, first 2 shown]
	s_waitcnt lgkmcnt(0)
	v_sub_f32_e32 v9, v2, v7
	v_add_f32_e32 v10, v3, v8
	v_sub_f32_e32 v3, v3, v8
	v_add_f32_e32 v2, v2, v7
	v_mul_f32_e32 v8, 0.5, v9
	v_mul_f32_e32 v9, 0.5, v10
	;; [unrolled: 1-line block ×3, first 2 shown]
	s_waitcnt vmcnt(0)
	v_mul_f32_e32 v7, v5, v8
	v_fma_f32 v10, v9, v5, v3
	v_fma_f32 v3, v9, v5, -v3
	v_fma_f32 v5, 0.5, v2, v7
	v_fma_f32 v2, v2, 0.5, -v7
	v_fma_f32 v7, -v4, v8, v10
	v_fma_f32 v3, -v4, v8, v3
	v_fmac_f32_e32 v5, v4, v9
	v_fma_f32 v2, -v4, v9, v2
	ds_write2_b32 v12, v5, v7 offset0:152 offset1:153
	ds_write_b64 v6, v[2:3] offset:2176
	s_waitcnt lgkmcnt(0)
	s_barrier
	buffer_gl0_inv
	s_and_saveexec_b32 s0, vcc_lo
	s_cbranch_execz .LBB0_19
; %bb.17:
	ds_read2_b64 v[4:7], v38 offset1:34
	ds_read2_b64 v[8:11], v38 offset0:68 offset1:102
	v_add_nc_u32_e32 v28, 0x800, v38
	v_add_co_u32 v2, vcc_lo, s2, v34
	ds_read2_b64 v[12:15], v38 offset0:136 offset1:170
	ds_read2_b64 v[16:19], v38 offset0:204 offset1:238
	;; [unrolled: 1-line block ×5, first 2 shown]
	v_add_co_ci_u32_e32 v3, vcc_lo, s3, v35, vcc_lo
	v_add_co_u32 v0, vcc_lo, v2, v0
	v_add_co_ci_u32_e32 v1, vcc_lo, v3, v1, vcc_lo
	s_waitcnt lgkmcnt(6)
	global_store_dwordx2 v[0:1], v[4:5], off
	global_store_dwordx2 v[0:1], v[6:7], off offset:272
	s_waitcnt lgkmcnt(5)
	global_store_dwordx2 v[0:1], v[8:9], off offset:544
	global_store_dwordx2 v[0:1], v[10:11], off offset:816
	v_add_co_u32 v4, vcc_lo, 0x800, v0
	v_add_co_ci_u32_e32 v5, vcc_lo, 0, v1, vcc_lo
	v_cmp_eq_u32_e32 vcc_lo, 33, v32
	s_waitcnt lgkmcnt(4)
	global_store_dwordx2 v[0:1], v[12:13], off offset:1088
	global_store_dwordx2 v[0:1], v[14:15], off offset:1360
	s_waitcnt lgkmcnt(3)
	global_store_dwordx2 v[0:1], v[16:17], off offset:1632
	global_store_dwordx2 v[0:1], v[18:19], off offset:1904
	;; [unrolled: 3-line block ×5, first 2 shown]
	s_and_b32 exec_lo, exec_lo, vcc_lo
	s_cbranch_execz .LBB0_19
; %bb.18:
	ds_read_b64 v[0:1], v38 offset:3544
	v_add_co_u32 v2, vcc_lo, 0x800, v2
	v_add_co_ci_u32_e32 v3, vcc_lo, 0, v3, vcc_lo
	s_waitcnt lgkmcnt(0)
	global_store_dwordx2 v[2:3], v[0:1], off offset:1760
.LBB0_19:
	s_endpgm
	.section	.rodata,"a",@progbits
	.p2align	6, 0x0
	.amdhsa_kernel fft_rtc_fwd_len476_factors_17_2_7_2_wgs_102_tpt_34_halfLds_sp_ip_CI_unitstride_sbrr_R2C_dirReg
		.amdhsa_group_segment_fixed_size 0
		.amdhsa_private_segment_fixed_size 0
		.amdhsa_kernarg_size 88
		.amdhsa_user_sgpr_count 6
		.amdhsa_user_sgpr_private_segment_buffer 1
		.amdhsa_user_sgpr_dispatch_ptr 0
		.amdhsa_user_sgpr_queue_ptr 0
		.amdhsa_user_sgpr_kernarg_segment_ptr 1
		.amdhsa_user_sgpr_dispatch_id 0
		.amdhsa_user_sgpr_flat_scratch_init 0
		.amdhsa_user_sgpr_private_segment_size 0
		.amdhsa_wavefront_size32 1
		.amdhsa_uses_dynamic_stack 0
		.amdhsa_system_sgpr_private_segment_wavefront_offset 0
		.amdhsa_system_sgpr_workgroup_id_x 1
		.amdhsa_system_sgpr_workgroup_id_y 0
		.amdhsa_system_sgpr_workgroup_id_z 0
		.amdhsa_system_sgpr_workgroup_info 0
		.amdhsa_system_vgpr_workitem_id 0
		.amdhsa_next_free_vgpr 153
		.amdhsa_next_free_sgpr 21
		.amdhsa_reserve_vcc 1
		.amdhsa_reserve_flat_scratch 0
		.amdhsa_float_round_mode_32 0
		.amdhsa_float_round_mode_16_64 0
		.amdhsa_float_denorm_mode_32 3
		.amdhsa_float_denorm_mode_16_64 3
		.amdhsa_dx10_clamp 1
		.amdhsa_ieee_mode 1
		.amdhsa_fp16_overflow 0
		.amdhsa_workgroup_processor_mode 1
		.amdhsa_memory_ordered 1
		.amdhsa_forward_progress 0
		.amdhsa_shared_vgpr_count 0
		.amdhsa_exception_fp_ieee_invalid_op 0
		.amdhsa_exception_fp_denorm_src 0
		.amdhsa_exception_fp_ieee_div_zero 0
		.amdhsa_exception_fp_ieee_overflow 0
		.amdhsa_exception_fp_ieee_underflow 0
		.amdhsa_exception_fp_ieee_inexact 0
		.amdhsa_exception_int_div_zero 0
	.end_amdhsa_kernel
	.text
.Lfunc_end0:
	.size	fft_rtc_fwd_len476_factors_17_2_7_2_wgs_102_tpt_34_halfLds_sp_ip_CI_unitstride_sbrr_R2C_dirReg, .Lfunc_end0-fft_rtc_fwd_len476_factors_17_2_7_2_wgs_102_tpt_34_halfLds_sp_ip_CI_unitstride_sbrr_R2C_dirReg
                                        ; -- End function
	.section	.AMDGPU.csdata,"",@progbits
; Kernel info:
; codeLenInByte = 11068
; NumSgprs: 23
; NumVgprs: 153
; ScratchSize: 0
; MemoryBound: 0
; FloatMode: 240
; IeeeMode: 1
; LDSByteSize: 0 bytes/workgroup (compile time only)
; SGPRBlocks: 2
; VGPRBlocks: 19
; NumSGPRsForWavesPerEU: 23
; NumVGPRsForWavesPerEU: 153
; Occupancy: 6
; WaveLimiterHint : 1
; COMPUTE_PGM_RSRC2:SCRATCH_EN: 0
; COMPUTE_PGM_RSRC2:USER_SGPR: 6
; COMPUTE_PGM_RSRC2:TRAP_HANDLER: 0
; COMPUTE_PGM_RSRC2:TGID_X_EN: 1
; COMPUTE_PGM_RSRC2:TGID_Y_EN: 0
; COMPUTE_PGM_RSRC2:TGID_Z_EN: 0
; COMPUTE_PGM_RSRC2:TIDIG_COMP_CNT: 0
	.text
	.p2alignl 6, 3214868480
	.fill 48, 4, 3214868480
	.type	__hip_cuid_eb9218897e97eac7,@object ; @__hip_cuid_eb9218897e97eac7
	.section	.bss,"aw",@nobits
	.globl	__hip_cuid_eb9218897e97eac7
__hip_cuid_eb9218897e97eac7:
	.byte	0                               ; 0x0
	.size	__hip_cuid_eb9218897e97eac7, 1

	.ident	"AMD clang version 19.0.0git (https://github.com/RadeonOpenCompute/llvm-project roc-6.4.0 25133 c7fe45cf4b819c5991fe208aaa96edf142730f1d)"
	.section	".note.GNU-stack","",@progbits
	.addrsig
	.addrsig_sym __hip_cuid_eb9218897e97eac7
	.amdgpu_metadata
---
amdhsa.kernels:
  - .args:
      - .actual_access:  read_only
        .address_space:  global
        .offset:         0
        .size:           8
        .value_kind:     global_buffer
      - .offset:         8
        .size:           8
        .value_kind:     by_value
      - .actual_access:  read_only
        .address_space:  global
        .offset:         16
        .size:           8
        .value_kind:     global_buffer
      - .actual_access:  read_only
        .address_space:  global
        .offset:         24
        .size:           8
        .value_kind:     global_buffer
      - .offset:         32
        .size:           8
        .value_kind:     by_value
      - .actual_access:  read_only
        .address_space:  global
        .offset:         40
        .size:           8
        .value_kind:     global_buffer
      - .actual_access:  read_only
        .address_space:  global
        .offset:         48
        .size:           8
        .value_kind:     global_buffer
      - .offset:         56
        .size:           4
        .value_kind:     by_value
      - .actual_access:  read_only
        .address_space:  global
        .offset:         64
        .size:           8
        .value_kind:     global_buffer
      - .actual_access:  read_only
        .address_space:  global
        .offset:         72
        .size:           8
        .value_kind:     global_buffer
      - .address_space:  global
        .offset:         80
        .size:           8
        .value_kind:     global_buffer
    .group_segment_fixed_size: 0
    .kernarg_segment_align: 8
    .kernarg_segment_size: 88
    .language:       OpenCL C
    .language_version:
      - 2
      - 0
    .max_flat_workgroup_size: 102
    .name:           fft_rtc_fwd_len476_factors_17_2_7_2_wgs_102_tpt_34_halfLds_sp_ip_CI_unitstride_sbrr_R2C_dirReg
    .private_segment_fixed_size: 0
    .sgpr_count:     23
    .sgpr_spill_count: 0
    .symbol:         fft_rtc_fwd_len476_factors_17_2_7_2_wgs_102_tpt_34_halfLds_sp_ip_CI_unitstride_sbrr_R2C_dirReg.kd
    .uniform_work_group_size: 1
    .uses_dynamic_stack: false
    .vgpr_count:     153
    .vgpr_spill_count: 0
    .wavefront_size: 32
    .workgroup_processor_mode: 1
amdhsa.target:   amdgcn-amd-amdhsa--gfx1030
amdhsa.version:
  - 1
  - 2
...

	.end_amdgpu_metadata
